;; amdgpu-corpus repo=ggml-org/llama.cpp kind=compiled arch=gfx1250 opt=O3
	.amdgcn_target "amdgcn-amd-amdhsa--gfx1250"
	.amdhsa_code_object_version 6
	.section	.text._ZL13roll_f32_cudaPKfPflllliiii,"axG",@progbits,_ZL13roll_f32_cudaPKfPflllliiii,comdat
	.globl	_ZL13roll_f32_cudaPKfPflllliiii ; -- Begin function _ZL13roll_f32_cudaPKfPflllliiii
	.p2align	8
	.type	_ZL13roll_f32_cudaPKfPflllliiii,@function
_ZL13roll_f32_cudaPKfPflllliiii:        ; @_ZL13roll_f32_cudaPKfPflllliiii
; %bb.0:
	s_clause 0x1
	s_load_b32 s2, s[0:1], 0x4c
	s_load_b256 s[4:11], s[0:1], 0x10
	s_bfe_u32 s3, ttmp6, 0x4000c
	v_mov_b32_e32 v2, 0
	s_add_co_i32 s3, s3, 1
	s_and_b32 s12, ttmp6, 15
	s_mul_i32 s3, ttmp9, s3
	s_getreg_b32 s13, hwreg(HW_REG_IB_STS2, 6, 4)
	v_mov_b32_e32 v1, v2
	s_add_co_i32 s12, s12, s3
	s_wait_kmcnt 0x0
	s_and_b32 s2, s2, 0xffff
	s_cmp_eq_u32 s13, 0
	s_mul_u64 s[16:17], s[6:7], s[4:5]
	s_cselect_b32 s3, ttmp9, s12
	s_mul_u64 s[18:19], s[16:17], s[8:9]
	v_mad_nc_u64_u32 v[0:1], s2, s3, v[0:1]
	s_mul_u64 s[2:3], s[18:19], s[10:11]
	s_delay_alu instid0(VALU_DEP_1) | instid1(SALU_CYCLE_1)
	v_cmp_gt_i64_e32 vcc_lo, s[2:3], v[0:1]
	s_and_saveexec_b32 s2, vcc_lo
	s_cbranch_execz .LBB0_42
; %bb.1:
	v_dual_ashrrev_i32 v6, 31, v1 :: v_dual_bitop2_b32 v3, s5, v1 bitop3:0x54
	s_delay_alu instid0(VALU_DEP_1) | instskip(SKIP_1) | instid1(SALU_CYCLE_1)
	v_cmp_ne_u64_e32 vcc_lo, 0, v[2:3]
                                        ; implicit-def: $vgpr2_vgpr3
	s_and_saveexec_b32 s2, vcc_lo
	s_xor_b32 s3, exec_lo, s2
	s_cbranch_execz .LBB0_3
; %bb.2:
	s_ashr_i32 s12, s5, 31
	s_mov_b32 s27, 0
	s_mov_b32 s13, s12
	v_dual_mov_b32 v7, v6 :: v_dual_mov_b32 v5, 0
	s_add_nc_u64 s[14:15], s[4:5], s[12:13]
	s_delay_alu instid0(SALU_CYCLE_1) | instskip(NEXT) | instid1(VALU_DEP_1)
	s_xor_b64 s[14:15], s[14:15], s[12:13]
	v_add_nc_u64_e32 v[2:3], v[0:1], v[6:7]
	s_cvt_f32_u32 s2, s14
	s_cvt_f32_u32 s13, s15
	s_sub_nc_u64 s[22:23], 0, s[14:15]
	v_dual_mov_b32 v9, v5 :: v_dual_mov_b32 v15, v5
	s_delay_alu instid0(SALU_CYCLE_1) | instskip(NEXT) | instid1(VALU_DEP_2)
	s_fmamk_f32 s2, s13, 0x4f800000, s2
	v_xor_b32_e32 v4, v2, v6
	v_xor_b32_e32 v8, v3, v6
	s_delay_alu instid0(SALU_CYCLE_1) | instskip(NEXT) | instid1(TRANS32_DEP_1)
	v_s_rcp_f32 s2, s2
	s_mul_f32 s2, s2, 0x5f7ffffc
	s_delay_alu instid0(SALU_CYCLE_3) | instskip(NEXT) | instid1(SALU_CYCLE_3)
	s_mul_f32 s13, s2, 0x2f800000
	s_trunc_f32 s13, s13
	s_delay_alu instid0(SALU_CYCLE_3) | instskip(SKIP_1) | instid1(SALU_CYCLE_2)
	s_fmamk_f32 s2, s13, 0xcf800000, s2
	s_cvt_u32_f32 s21, s13
	s_cvt_u32_f32 s20, s2
	s_delay_alu instid0(SALU_CYCLE_3) | instskip(NEXT) | instid1(SALU_CYCLE_1)
	s_mul_u64 s[24:25], s[22:23], s[20:21]
	s_mul_hi_u32 s29, s20, s25
	s_mul_i32 s28, s20, s25
	s_mul_hi_u32 s26, s20, s24
	s_mul_i32 s13, s21, s24
	s_add_nc_u64 s[28:29], s[26:27], s[28:29]
	s_mul_hi_u32 s2, s21, s24
	s_mul_hi_u32 s30, s21, s25
	s_add_co_u32 s13, s28, s13
	s_add_co_ci_u32 s26, s29, s2
	s_mul_i32 s24, s21, s25
	s_add_co_ci_u32 s25, s30, 0
	s_delay_alu instid0(SALU_CYCLE_1) | instskip(NEXT) | instid1(SALU_CYCLE_1)
	s_add_nc_u64 s[24:25], s[26:27], s[24:25]
	s_add_co_u32 s20, s20, s24
	s_cselect_b32 s2, -1, 0
	s_delay_alu instid0(SALU_CYCLE_1) | instskip(SKIP_1) | instid1(SALU_CYCLE_1)
	s_cmp_lg_u32 s2, 0
	s_add_co_ci_u32 s21, s21, s25
	s_mul_u64 s[22:23], s[22:23], s[20:21]
	s_delay_alu instid0(SALU_CYCLE_1)
	s_mul_hi_u32 s25, s20, s23
	s_mul_i32 s24, s20, s23
	s_mul_hi_u32 s26, s20, s22
	s_mul_i32 s13, s21, s22
	s_add_nc_u64 s[24:25], s[26:27], s[24:25]
	s_mul_hi_u32 s2, s21, s22
	s_mul_hi_u32 s28, s21, s23
	s_add_co_u32 s13, s24, s13
	s_add_co_ci_u32 s26, s25, s2
	s_mul_i32 s22, s21, s23
	s_add_co_ci_u32 s23, s28, 0
	s_delay_alu instid0(SALU_CYCLE_1) | instskip(NEXT) | instid1(SALU_CYCLE_1)
	s_add_nc_u64 s[22:23], s[26:27], s[22:23]
	s_add_co_u32 s2, s20, s22
	s_cselect_b32 s13, -1, 0
	v_nop
	v_mul_hi_u32 v14, v4, s2
	s_cmp_lg_u32 s13, 0
	s_add_co_ci_u32 s26, s21, s23
	s_mov_b64 s[20:21], 0xffffffff
	v_mul_u64_e32 v[10:11], s[26:27], v[4:5]
	s_and_b64 s[20:21], s[2:3], s[20:21]
	v_mul_u64_e32 v[12:13], s[26:27], v[8:9]
	v_mul_u64_e32 v[2:3], s[20:21], v[8:9]
	s_delay_alu instid0(VALU_DEP_3) | instskip(NEXT) | instid1(VALU_DEP_1)
	v_add_nc_u64_e32 v[10:11], v[14:15], v[10:11]
	v_add_co_u32 v2, vcc_lo, v10, v2
	s_delay_alu instid0(VALU_DEP_2) | instskip(SKIP_1) | instid1(VALU_DEP_1)
	v_add_co_ci_u32_e32 v14, vcc_lo, v11, v3, vcc_lo
	v_add_co_ci_u32_e32 v13, vcc_lo, 0, v13, vcc_lo
	v_add_nc_u64_e32 v[2:3], v[14:15], v[12:13]
	s_delay_alu instid0(VALU_DEP_1) | instskip(NEXT) | instid1(VALU_DEP_1)
	v_mul_u64_e32 v[10:11], s[14:15], v[2:3]
	v_sub_nc_u32_e32 v5, v8, v11
	s_delay_alu instid0(VALU_DEP_2) | instskip(NEXT) | instid1(VALU_DEP_1)
	v_sub_co_u32 v4, vcc_lo, v4, v10
	v_sub_co_ci_u32_e64 v10, null, v8, v11, vcc_lo
	s_delay_alu instid0(VALU_DEP_3) | instskip(NEXT) | instid1(VALU_DEP_3)
	v_subrev_co_ci_u32_e64 v5, null, s15, v5, vcc_lo
	v_sub_co_u32 v7, s2, v4, s14
	s_delay_alu instid0(VALU_DEP_1) | instskip(NEXT) | instid1(VALU_DEP_2)
	v_subrev_co_ci_u32_e64 v5, null, 0, v5, s2
	v_cmp_le_u32_e32 vcc_lo, s14, v7
	v_cndmask_b32_e64 v7, 0, -1, vcc_lo
	s_delay_alu instid0(VALU_DEP_3)
	v_cmp_le_u32_e32 vcc_lo, s15, v5
	v_cndmask_b32_e64 v8, 0, -1, vcc_lo
	v_cmp_le_u32_e32 vcc_lo, s14, v4
	v_cndmask_b32_e64 v11, 0, -1, vcc_lo
	;; [unrolled: 2-line block ×3, first 2 shown]
	v_cmp_eq_u32_e32 vcc_lo, s15, v5
	v_add_nc_u64_e32 v[4:5], 2, v[2:3]
	v_cndmask_b32_e32 v7, v8, v7, vcc_lo
	v_cmp_eq_u32_e32 vcc_lo, s15, v10
	v_add_nc_u64_e32 v[8:9], 1, v[2:3]
	v_cndmask_b32_e32 v10, v12, v11, vcc_lo
	s_delay_alu instid0(VALU_DEP_4) | instskip(NEXT) | instid1(VALU_DEP_3)
	v_cmp_ne_u32_e32 vcc_lo, 0, v7
	v_dual_cndmask_b32 v5, v9, v5, vcc_lo :: v_dual_cndmask_b32 v7, v8, v4, vcc_lo
	v_xor_b32_e32 v4, s12, v6
	s_delay_alu instid0(VALU_DEP_4) | instskip(NEXT) | instid1(VALU_DEP_1)
	v_cmp_ne_u32_e64 s2, 0, v10
	v_dual_cndmask_b32 v3, v3, v5, s2 :: v_dual_cndmask_b32 v2, v2, v7, s2
	s_delay_alu instid0(VALU_DEP_1) | instskip(NEXT) | instid1(VALU_DEP_2)
	v_dual_mov_b32 v5, v4 :: v_dual_bitop2_b32 v3, v3, v4 bitop3:0x14
	v_xor_b32_e32 v2, v2, v4
	s_delay_alu instid0(VALU_DEP_1)
	v_sub_nc_u64_e32 v[2:3], v[2:3], v[4:5]
.LBB0_3:
	s_and_not1_saveexec_b32 s2, s3
	s_cbranch_execz .LBB0_5
; %bb.4:
	v_cvt_f32_u32_e32 v2, s4
	s_sub_co_i32 s3, 0, s4
	s_delay_alu instid0(VALU_DEP_1) | instskip(SKIP_1) | instid1(TRANS32_DEP_1)
	v_rcp_iflag_f32_e32 v2, v2
	v_nop
	v_mul_f32_e32 v2, 0x4f7ffffe, v2
	s_delay_alu instid0(VALU_DEP_1) | instskip(NEXT) | instid1(VALU_DEP_1)
	v_cvt_u32_f32_e32 v2, v2
	v_mul_lo_u32 v3, s3, v2
	s_delay_alu instid0(VALU_DEP_1) | instskip(NEXT) | instid1(VALU_DEP_1)
	v_mul_hi_u32 v3, v2, v3
	v_add_nc_u32_e32 v2, v2, v3
	s_delay_alu instid0(VALU_DEP_1) | instskip(NEXT) | instid1(VALU_DEP_1)
	v_mul_hi_u32 v2, v0, v2
	v_mul_lo_u32 v3, v2, s4
	s_delay_alu instid0(VALU_DEP_1) | instskip(NEXT) | instid1(VALU_DEP_1)
	v_dual_add_nc_u32 v4, 1, v2 :: v_dual_sub_nc_u32 v3, v0, v3
	v_subrev_nc_u32_e32 v5, s4, v3
	v_cmp_le_u32_e32 vcc_lo, s4, v3
	s_delay_alu instid0(VALU_DEP_2) | instskip(NEXT) | instid1(VALU_DEP_1)
	v_dual_cndmask_b32 v3, v3, v5 :: v_dual_cndmask_b32 v2, v2, v4
	v_cmp_le_u32_e32 vcc_lo, s4, v3
	s_delay_alu instid0(VALU_DEP_2) | instskip(NEXT) | instid1(VALU_DEP_1)
	v_dual_mov_b32 v3, 0 :: v_dual_add_nc_u32 v4, 1, v2
	v_cndmask_b32_e32 v2, v2, v4, vcc_lo
.LBB0_5:
	s_or_b32 exec_lo, exec_lo, s2
	s_delay_alu instid0(VALU_DEP_1) | instskip(SKIP_1) | instid1(VALU_DEP_1)
	v_dual_mov_b32 v8, 0 :: v_dual_bitop2_b32 v9, s7, v3 bitop3:0x54
                                        ; implicit-def: $vgpr4_vgpr5
	s_mov_b32 s2, exec_lo
	v_cmpx_ne_u64_e32 0, v[8:9]
	s_xor_b32 s3, exec_lo, s2
	s_cbranch_execz .LBB0_7
; %bb.6:
	s_ashr_i32 s12, s7, 31
	s_mov_b32 s25, 0
	s_mov_b32 s13, s12
	v_dual_mov_b32 v13, v8 :: v_dual_ashrrev_i32 v4, 31, v3
	s_add_nc_u64 s[14:15], s[6:7], s[12:13]
	v_dual_mov_b32 v21, v8 :: v_dual_mov_b32 v9, v8
	s_xor_b64 s[12:13], s[14:15], s[12:13]
	s_delay_alu instid0(VALU_DEP_2) | instskip(SKIP_3) | instid1(VALU_DEP_1)
	v_mov_b32_e32 v5, v4
	s_cvt_f32_u32 s2, s12
	s_cvt_f32_u32 s14, s13
	s_sub_nc_u64 s[20:21], 0, s[12:13]
	v_add_nc_u64_e32 v[10:11], v[2:3], v[4:5]
	s_delay_alu instid0(SALU_CYCLE_1) | instskip(SKIP_1) | instid1(SALU_CYCLE_2)
	s_fmamk_f32 s2, s14, 0x4f800000, s2
	v_mov_b32_e32 v15, v8
	v_s_rcp_f32 s2, s2
	s_delay_alu instid0(VALU_DEP_2) | instskip(NEXT) | instid1(VALU_DEP_3)
	v_xor_b32_e32 v12, v10, v4
	v_xor_b32_e32 v14, v11, v4
	s_delay_alu instid0(TRANS32_DEP_1) | instskip(NEXT) | instid1(SALU_CYCLE_3)
	s_mul_f32 s2, s2, 0x5f7ffffc
	s_mul_f32 s14, s2, 0x2f800000
	s_delay_alu instid0(SALU_CYCLE_3) | instskip(NEXT) | instid1(SALU_CYCLE_3)
	s_trunc_f32 s14, s14
	s_fmamk_f32 s2, s14, 0xcf800000, s2
	s_cvt_u32_f32 s15, s14
	s_delay_alu instid0(SALU_CYCLE_2) | instskip(NEXT) | instid1(SALU_CYCLE_3)
	s_cvt_u32_f32 s14, s2
	s_mul_u64 s[22:23], s[20:21], s[14:15]
	s_delay_alu instid0(SALU_CYCLE_1)
	s_mul_hi_u32 s27, s14, s23
	s_mul_i32 s26, s14, s23
	s_mul_hi_u32 s24, s14, s22
	s_mul_i32 s28, s15, s22
	s_add_nc_u64 s[26:27], s[24:25], s[26:27]
	s_mul_hi_u32 s2, s15, s22
	s_mul_hi_u32 s29, s15, s23
	s_mul_i32 s22, s15, s23
	s_add_co_u32 s23, s26, s28
	s_add_co_ci_u32 s24, s27, s2
	s_add_co_ci_u32 s23, s29, 0
	s_delay_alu instid0(SALU_CYCLE_1) | instskip(NEXT) | instid1(SALU_CYCLE_1)
	s_add_nc_u64 s[22:23], s[24:25], s[22:23]
	s_add_co_u32 s14, s14, s22
	s_cselect_b32 s2, -1, 0
	s_delay_alu instid0(SALU_CYCLE_1) | instskip(SKIP_1) | instid1(SALU_CYCLE_1)
	s_cmp_lg_u32 s2, 0
	s_add_co_ci_u32 s15, s15, s23
	s_mul_u64 s[20:21], s[20:21], s[14:15]
	s_delay_alu instid0(SALU_CYCLE_1)
	s_mul_hi_u32 s23, s14, s21
	s_mul_i32 s22, s14, s21
	s_mul_hi_u32 s24, s14, s20
	s_mul_i32 s26, s15, s20
	s_add_nc_u64 s[22:23], s[24:25], s[22:23]
	s_mul_hi_u32 s2, s15, s20
	s_mul_hi_u32 s27, s15, s21
	s_mul_i32 s20, s15, s21
	s_add_co_u32 s21, s22, s26
	s_add_co_ci_u32 s24, s23, s2
	s_add_co_ci_u32 s21, s27, 0
	s_delay_alu instid0(SALU_CYCLE_1) | instskip(NEXT) | instid1(SALU_CYCLE_1)
	s_add_nc_u64 s[20:21], s[24:25], s[20:21]
	s_add_co_u32 s2, s14, s20
	s_cselect_b32 s14, -1, 0
	v_mul_hi_u32 v20, v12, s2
	s_cmp_lg_u32 s14, 0
	s_add_co_ci_u32 s24, s15, s21
	s_mov_b64 s[14:15], 0xffffffff
	v_mul_u64_e32 v[16:17], s[24:25], v[12:13]
	s_and_b64 s[14:15], s[2:3], s[14:15]
	v_mul_u64_e32 v[18:19], s[24:25], v[14:15]
	v_mul_u64_e32 v[10:11], s[14:15], v[14:15]
	s_delay_alu instid0(VALU_DEP_3) | instskip(NEXT) | instid1(VALU_DEP_1)
	v_add_nc_u64_e32 v[16:17], v[20:21], v[16:17]
	v_add_co_u32 v7, vcc_lo, v16, v10
	s_delay_alu instid0(VALU_DEP_2) | instskip(SKIP_1) | instid1(VALU_DEP_1)
	v_add_co_ci_u32_e32 v8, vcc_lo, v17, v11, vcc_lo
	v_add_co_ci_u32_e32 v19, vcc_lo, 0, v19, vcc_lo
	v_add_nc_u64_e32 v[8:9], v[8:9], v[18:19]
	s_delay_alu instid0(VALU_DEP_1) | instskip(NEXT) | instid1(VALU_DEP_1)
	v_mul_u64_e32 v[8:9], s[12:13], v[8:9]
	v_sub_co_u32 v8, vcc_lo, v12, v8
	s_delay_alu instid0(VALU_DEP_1) | instskip(NEXT) | instid1(VALU_DEP_1)
	v_cmp_le_u32_e64 s2, s12, v8
	v_cndmask_b32_e64 v12, 0, -1, s2
	s_delay_alu instid0(VALU_DEP_4) | instskip(SKIP_1) | instid1(VALU_DEP_2)
	v_sub_nc_u32_e32 v7, v14, v9
	v_sub_co_ci_u32_e64 v9, null, v14, v9, vcc_lo
	v_subrev_co_ci_u32_e64 v7, null, s13, v7, vcc_lo
	v_sub_co_u32 v10, vcc_lo, v8, s12
	s_delay_alu instid0(VALU_DEP_1) | instskip(NEXT) | instid1(VALU_DEP_2)
	v_subrev_co_ci_u32_e64 v11, null, 0, v7, vcc_lo
	v_cmp_le_u32_e64 s2, s12, v10
	v_subrev_co_ci_u32_e64 v7, null, s13, v7, vcc_lo
	v_cmp_le_u32_e32 vcc_lo, s13, v9
	s_delay_alu instid0(VALU_DEP_3) | instskip(SKIP_3) | instid1(VALU_DEP_3)
	v_cndmask_b32_e64 v13, 0, -1, s2
	v_cmp_le_u32_e64 s2, s13, v11
	v_cndmask_b32_e64 v15, 0, -1, vcc_lo
	v_cmp_eq_u32_e32 vcc_lo, s13, v11
	v_cndmask_b32_e64 v14, 0, -1, s2
	v_cmp_eq_u32_e64 s2, s13, v9
	s_delay_alu instid0(VALU_DEP_2) | instskip(SKIP_1) | instid1(VALU_DEP_1)
	v_cndmask_b32_e32 v13, v14, v13, vcc_lo
	v_sub_co_u32 v14, vcc_lo, v10, s12
	v_subrev_co_ci_u32_e64 v7, null, 0, v7, vcc_lo
	s_delay_alu instid0(VALU_DEP_3) | instskip(SKIP_1) | instid1(VALU_DEP_3)
	v_cmp_ne_u32_e32 vcc_lo, 0, v13
	v_cndmask_b32_e64 v12, v15, v12, s2
	v_dual_cndmask_b32 v7, v11, v7 :: v_dual_cndmask_b32 v10, v10, v14
	s_delay_alu instid0(VALU_DEP_2) | instskip(NEXT) | instid1(VALU_DEP_2)
	v_cmp_ne_u32_e32 vcc_lo, 0, v12
	v_dual_cndmask_b32 v7, v9, v7 :: v_dual_cndmask_b32 v8, v8, v10
	s_delay_alu instid0(VALU_DEP_1) | instskip(NEXT) | instid1(VALU_DEP_2)
	v_xor_b32_e32 v9, v7, v4
	v_xor_b32_e32 v8, v8, v4
	s_delay_alu instid0(VALU_DEP_1)
	v_sub_nc_u64_e32 v[4:5], v[8:9], v[4:5]
.LBB0_7:
	s_and_not1_saveexec_b32 s2, s3
	s_cbranch_execz .LBB0_9
; %bb.8:
	v_cvt_f32_u32_e32 v4, s6
	s_sub_co_i32 s3, 0, s6
	s_delay_alu instid0(VALU_DEP_1) | instskip(SKIP_1) | instid1(TRANS32_DEP_1)
	v_rcp_iflag_f32_e32 v4, v4
	v_nop
	v_mul_f32_e32 v4, 0x4f7ffffe, v4
	s_delay_alu instid0(VALU_DEP_1) | instskip(NEXT) | instid1(VALU_DEP_1)
	v_cvt_u32_f32_e32 v4, v4
	v_mul_lo_u32 v5, s3, v4
	s_delay_alu instid0(VALU_DEP_1) | instskip(NEXT) | instid1(VALU_DEP_1)
	v_mul_hi_u32 v5, v4, v5
	v_add_nc_u32_e32 v4, v4, v5
	s_delay_alu instid0(VALU_DEP_1) | instskip(NEXT) | instid1(VALU_DEP_1)
	v_mul_hi_u32 v4, v2, v4
	v_mul_lo_u32 v4, v4, s6
	s_delay_alu instid0(VALU_DEP_1) | instskip(NEXT) | instid1(VALU_DEP_1)
	v_sub_nc_u32_e32 v4, v2, v4
	v_subrev_nc_u32_e32 v5, s6, v4
	v_cmp_le_u32_e32 vcc_lo, s6, v4
	s_delay_alu instid0(VALU_DEP_2) | instskip(NEXT) | instid1(VALU_DEP_1)
	v_cndmask_b32_e32 v4, v4, v5, vcc_lo
	v_subrev_nc_u32_e32 v5, s6, v4
	v_cmp_le_u32_e32 vcc_lo, s6, v4
	s_delay_alu instid0(VALU_DEP_2)
	v_dual_cndmask_b32 v4, v4, v5 :: v_dual_mov_b32 v5, 0
.LBB0_9:
	s_or_b32 exec_lo, exec_lo, s2
	v_dual_mov_b32 v8, 0 :: v_dual_bitop2_b32 v9, s17, v1 bitop3:0x54
                                        ; implicit-def: $vgpr10_vgpr11
	s_mov_b32 s2, exec_lo
	s_delay_alu instid0(VALU_DEP_1)
	v_cmpx_ne_u64_e32 0, v[8:9]
	s_xor_b32 s3, exec_lo, s2
	s_cbranch_execz .LBB0_11
; %bb.10:
	s_ashr_i32 s12, s17, 31
	s_mov_b32 s27, 0
	s_mov_b32 s13, s12
	v_dual_mov_b32 v7, v6 :: v_dual_mov_b32 v13, v8
	s_add_nc_u64 s[14:15], s[16:17], s[12:13]
	v_mov_b32_e32 v15, v8
	s_xor_b64 s[14:15], s[14:15], s[12:13]
	s_delay_alu instid0(VALU_DEP_2) | instskip(SKIP_4) | instid1(SALU_CYCLE_1)
	v_add_nc_u64_e32 v[10:11], v[0:1], v[6:7]
	s_cvt_f32_u32 s2, s14
	s_cvt_f32_u32 s13, s15
	s_sub_nc_u64 s[22:23], 0, s[14:15]
	v_mov_b32_e32 v21, v8
	s_fmamk_f32 s2, s13, 0x4f800000, s2
	s_delay_alu instid0(VALU_DEP_2) | instskip(SKIP_1) | instid1(SALU_CYCLE_1)
	v_xor_b32_e32 v12, v10, v6
	v_dual_mov_b32 v9, v8 :: v_dual_bitop2_b32 v14, v11, v6 bitop3:0x14
	v_s_rcp_f32 s2, s2
	s_delay_alu instid0(TRANS32_DEP_1) | instskip(NEXT) | instid1(SALU_CYCLE_3)
	s_mul_f32 s2, s2, 0x5f7ffffc
	s_mul_f32 s13, s2, 0x2f800000
	s_delay_alu instid0(SALU_CYCLE_3) | instskip(NEXT) | instid1(SALU_CYCLE_3)
	s_trunc_f32 s13, s13
	s_fmamk_f32 s2, s13, 0xcf800000, s2
	s_cvt_u32_f32 s21, s13
	s_delay_alu instid0(SALU_CYCLE_2) | instskip(NEXT) | instid1(SALU_CYCLE_3)
	s_cvt_u32_f32 s20, s2
	s_mul_u64 s[24:25], s[22:23], s[20:21]
	s_delay_alu instid0(SALU_CYCLE_1)
	s_mul_hi_u32 s29, s20, s25
	s_mul_i32 s28, s20, s25
	s_mul_hi_u32 s26, s20, s24
	s_mul_i32 s13, s21, s24
	s_add_nc_u64 s[28:29], s[26:27], s[28:29]
	s_mul_hi_u32 s2, s21, s24
	s_mul_hi_u32 s30, s21, s25
	s_add_co_u32 s13, s28, s13
	s_add_co_ci_u32 s26, s29, s2
	s_mul_i32 s24, s21, s25
	s_add_co_ci_u32 s25, s30, 0
	s_delay_alu instid0(SALU_CYCLE_1) | instskip(NEXT) | instid1(SALU_CYCLE_1)
	s_add_nc_u64 s[24:25], s[26:27], s[24:25]
	s_add_co_u32 s20, s20, s24
	s_cselect_b32 s2, -1, 0
	s_delay_alu instid0(SALU_CYCLE_1) | instskip(SKIP_1) | instid1(SALU_CYCLE_1)
	s_cmp_lg_u32 s2, 0
	s_add_co_ci_u32 s21, s21, s25
	s_mul_u64 s[22:23], s[22:23], s[20:21]
	s_delay_alu instid0(SALU_CYCLE_1)
	s_mul_hi_u32 s25, s20, s23
	s_mul_i32 s24, s20, s23
	s_mul_hi_u32 s26, s20, s22
	s_mul_i32 s13, s21, s22
	s_add_nc_u64 s[24:25], s[26:27], s[24:25]
	s_mul_hi_u32 s2, s21, s22
	s_mul_hi_u32 s28, s21, s23
	s_add_co_u32 s13, s24, s13
	s_add_co_ci_u32 s26, s25, s2
	s_mul_i32 s22, s21, s23
	s_add_co_ci_u32 s23, s28, 0
	s_delay_alu instid0(SALU_CYCLE_1) | instskip(NEXT) | instid1(SALU_CYCLE_1)
	s_add_nc_u64 s[22:23], s[26:27], s[22:23]
	s_add_co_u32 s2, s20, s22
	s_cselect_b32 s13, -1, 0
	v_nop
	v_mul_hi_u32 v20, v12, s2
	s_cmp_lg_u32 s13, 0
	s_add_co_ci_u32 s26, s21, s23
	s_mov_b64 s[20:21], 0xffffffff
	v_mul_u64_e32 v[16:17], s[26:27], v[12:13]
	s_and_b64 s[20:21], s[2:3], s[20:21]
	v_mul_u64_e32 v[18:19], s[26:27], v[14:15]
	v_mul_u64_e32 v[10:11], s[20:21], v[14:15]
	s_delay_alu instid0(VALU_DEP_3) | instskip(NEXT) | instid1(VALU_DEP_1)
	v_add_nc_u64_e32 v[16:17], v[20:21], v[16:17]
	v_add_co_u32 v7, vcc_lo, v16, v10
	s_delay_alu instid0(VALU_DEP_2) | instskip(SKIP_1) | instid1(VALU_DEP_1)
	v_add_co_ci_u32_e32 v8, vcc_lo, v17, v11, vcc_lo
	v_add_co_ci_u32_e32 v19, vcc_lo, 0, v19, vcc_lo
	v_add_nc_u64_e32 v[8:9], v[8:9], v[18:19]
	s_delay_alu instid0(VALU_DEP_1) | instskip(NEXT) | instid1(VALU_DEP_1)
	v_mul_u64_e32 v[10:11], s[14:15], v[8:9]
	v_sub_nc_u32_e32 v7, v14, v11
	s_delay_alu instid0(VALU_DEP_2) | instskip(NEXT) | instid1(VALU_DEP_1)
	v_sub_co_u32 v10, vcc_lo, v12, v10
	v_sub_co_ci_u32_e64 v14, null, v14, v11, vcc_lo
	s_delay_alu instid0(VALU_DEP_3) | instskip(NEXT) | instid1(VALU_DEP_3)
	v_subrev_co_ci_u32_e64 v7, null, s15, v7, vcc_lo
	v_sub_co_u32 v12, s2, v10, s14
	s_delay_alu instid0(VALU_DEP_1) | instskip(NEXT) | instid1(VALU_DEP_2)
	v_subrev_co_ci_u32_e64 v7, null, 0, v7, s2
	v_cmp_le_u32_e32 vcc_lo, s14, v12
	v_cndmask_b32_e64 v11, 0, -1, vcc_lo
	s_delay_alu instid0(VALU_DEP_3)
	v_cmp_le_u32_e32 vcc_lo, s15, v7
	v_cndmask_b32_e64 v12, 0, -1, vcc_lo
	v_cmp_le_u32_e32 vcc_lo, s14, v10
	v_cndmask_b32_e64 v15, 0, -1, vcc_lo
	;; [unrolled: 2-line block ×3, first 2 shown]
	v_cmp_eq_u32_e32 vcc_lo, s15, v7
	v_cndmask_b32_e32 v7, v12, v11, vcc_lo
	v_cmp_eq_u32_e32 vcc_lo, s15, v14
	v_add_nc_u64_e32 v[10:11], 2, v[8:9]
	v_add_nc_u64_e32 v[12:13], 1, v[8:9]
	v_cndmask_b32_e32 v14, v16, v15, vcc_lo
	v_cmp_ne_u32_e32 vcc_lo, 0, v7
	s_delay_alu instid0(VALU_DEP_3) | instskip(SKIP_1) | instid1(VALU_DEP_4)
	v_dual_cndmask_b32 v7, v13, v11, vcc_lo :: v_dual_cndmask_b32 v11, v12, v10, vcc_lo
	v_xor_b32_e32 v10, s12, v6
	v_cmp_ne_u32_e64 s2, 0, v14
	s_delay_alu instid0(VALU_DEP_1) | instskip(NEXT) | instid1(VALU_DEP_3)
	v_cndmask_b32_e64 v8, v8, v11, s2
	v_dual_cndmask_b32 v7, v9, v7, s2 :: v_dual_mov_b32 v11, v10
	s_delay_alu instid0(VALU_DEP_2) | instskip(NEXT) | instid1(VALU_DEP_2)
	v_xor_b32_e32 v8, v8, v10
	v_xor_b32_e32 v9, v7, v10
	s_delay_alu instid0(VALU_DEP_1)
	v_sub_nc_u64_e32 v[10:11], v[8:9], v[10:11]
.LBB0_11:
	s_and_not1_saveexec_b32 s2, s3
	s_cbranch_execz .LBB0_13
; %bb.12:
	v_cvt_f32_u32_e32 v7, s16
	s_sub_co_i32 s3, 0, s16
	v_mov_b32_e32 v11, 0
	s_delay_alu instid0(VALU_DEP_2) | instskip(SKIP_1) | instid1(TRANS32_DEP_1)
	v_rcp_iflag_f32_e32 v7, v7
	v_nop
	v_mul_f32_e32 v7, 0x4f7ffffe, v7
	s_delay_alu instid0(VALU_DEP_1) | instskip(NEXT) | instid1(VALU_DEP_1)
	v_cvt_u32_f32_e32 v7, v7
	v_mul_lo_u32 v8, s3, v7
	s_delay_alu instid0(VALU_DEP_1) | instskip(NEXT) | instid1(VALU_DEP_1)
	v_mul_hi_u32 v8, v7, v8
	v_add_nc_u32_e32 v7, v7, v8
	s_delay_alu instid0(VALU_DEP_1) | instskip(NEXT) | instid1(VALU_DEP_1)
	v_mul_hi_u32 v7, v0, v7
	v_mul_lo_u32 v8, v7, s16
	s_delay_alu instid0(VALU_DEP_1) | instskip(NEXT) | instid1(VALU_DEP_1)
	v_dual_add_nc_u32 v9, 1, v7 :: v_dual_sub_nc_u32 v8, v0, v8
	v_subrev_nc_u32_e32 v10, s16, v8
	v_cmp_le_u32_e32 vcc_lo, s16, v8
	s_delay_alu instid0(VALU_DEP_2) | instskip(NEXT) | instid1(VALU_DEP_1)
	v_dual_cndmask_b32 v8, v8, v10 :: v_dual_cndmask_b32 v7, v7, v9
	v_cmp_le_u32_e32 vcc_lo, s16, v8
	s_delay_alu instid0(VALU_DEP_2) | instskip(NEXT) | instid1(VALU_DEP_1)
	v_add_nc_u32_e32 v9, 1, v7
	v_cndmask_b32_e32 v10, v7, v9, vcc_lo
.LBB0_13:
	s_or_b32 exec_lo, exec_lo, s2
	s_delay_alu instid0(VALU_DEP_1) | instskip(SKIP_1) | instid1(VALU_DEP_1)
	v_dual_mov_b32 v12, 0 :: v_dual_bitop2_b32 v13, s9, v11 bitop3:0x54
                                        ; implicit-def: $vgpr8_vgpr9
	s_mov_b32 s2, exec_lo
	v_cmpx_ne_u64_e32 0, v[12:13]
	s_xor_b32 s3, exec_lo, s2
	s_cbranch_execz .LBB0_15
; %bb.14:
	s_ashr_i32 s12, s9, 31
	s_mov_b32 s25, 0
	s_mov_b32 s13, s12
	v_dual_mov_b32 v15, v12 :: v_dual_ashrrev_i32 v8, 31, v11
	s_add_nc_u64 s[14:15], s[8:9], s[12:13]
	v_dual_mov_b32 v23, v12 :: v_dual_mov_b32 v13, v12
	s_xor_b64 s[12:13], s[14:15], s[12:13]
	s_delay_alu instid0(VALU_DEP_2) | instskip(SKIP_3) | instid1(VALU_DEP_1)
	v_mov_b32_e32 v9, v8
	s_cvt_f32_u32 s2, s12
	s_cvt_f32_u32 s14, s13
	s_sub_nc_u64 s[20:21], 0, s[12:13]
	v_add_nc_u64_e32 v[10:11], v[10:11], v[8:9]
	s_delay_alu instid0(SALU_CYCLE_1) | instskip(SKIP_1) | instid1(SALU_CYCLE_2)
	s_fmamk_f32 s2, s14, 0x4f800000, s2
	v_mov_b32_e32 v17, v12
	v_s_rcp_f32 s2, s2
	s_delay_alu instid0(VALU_DEP_2) | instskip(NEXT) | instid1(VALU_DEP_3)
	v_xor_b32_e32 v14, v10, v8
	v_xor_b32_e32 v16, v11, v8
	s_delay_alu instid0(TRANS32_DEP_1) | instskip(NEXT) | instid1(SALU_CYCLE_3)
	s_mul_f32 s2, s2, 0x5f7ffffc
	s_mul_f32 s14, s2, 0x2f800000
	s_delay_alu instid0(SALU_CYCLE_3) | instskip(NEXT) | instid1(SALU_CYCLE_3)
	s_trunc_f32 s14, s14
	s_fmamk_f32 s2, s14, 0xcf800000, s2
	s_cvt_u32_f32 s15, s14
	s_delay_alu instid0(SALU_CYCLE_2) | instskip(NEXT) | instid1(SALU_CYCLE_3)
	s_cvt_u32_f32 s14, s2
	s_mul_u64 s[22:23], s[20:21], s[14:15]
	s_delay_alu instid0(SALU_CYCLE_1)
	s_mul_hi_u32 s27, s14, s23
	s_mul_i32 s26, s14, s23
	s_mul_hi_u32 s24, s14, s22
	s_mul_i32 s28, s15, s22
	s_add_nc_u64 s[26:27], s[24:25], s[26:27]
	s_mul_hi_u32 s2, s15, s22
	s_mul_hi_u32 s29, s15, s23
	s_mul_i32 s22, s15, s23
	s_add_co_u32 s23, s26, s28
	s_add_co_ci_u32 s24, s27, s2
	s_add_co_ci_u32 s23, s29, 0
	s_delay_alu instid0(SALU_CYCLE_1) | instskip(NEXT) | instid1(SALU_CYCLE_1)
	s_add_nc_u64 s[22:23], s[24:25], s[22:23]
	s_add_co_u32 s14, s14, s22
	s_cselect_b32 s2, -1, 0
	s_delay_alu instid0(SALU_CYCLE_1) | instskip(SKIP_1) | instid1(SALU_CYCLE_1)
	s_cmp_lg_u32 s2, 0
	s_add_co_ci_u32 s15, s15, s23
	s_mul_u64 s[20:21], s[20:21], s[14:15]
	s_delay_alu instid0(SALU_CYCLE_1)
	s_mul_hi_u32 s23, s14, s21
	s_mul_i32 s22, s14, s21
	s_mul_hi_u32 s24, s14, s20
	s_mul_i32 s26, s15, s20
	s_add_nc_u64 s[22:23], s[24:25], s[22:23]
	s_mul_hi_u32 s2, s15, s20
	s_mul_hi_u32 s27, s15, s21
	s_mul_i32 s20, s15, s21
	s_add_co_u32 s21, s22, s26
	s_add_co_ci_u32 s24, s23, s2
	s_add_co_ci_u32 s21, s27, 0
	s_delay_alu instid0(SALU_CYCLE_1) | instskip(NEXT) | instid1(SALU_CYCLE_1)
	s_add_nc_u64 s[20:21], s[24:25], s[20:21]
	s_add_co_u32 s2, s14, s20
	s_cselect_b32 s14, -1, 0
	v_mul_hi_u32 v22, v14, s2
	s_cmp_lg_u32 s14, 0
	s_add_co_ci_u32 s24, s15, s21
	s_mov_b64 s[14:15], 0xffffffff
	v_mul_u64_e32 v[18:19], s[24:25], v[14:15]
	s_and_b64 s[14:15], s[2:3], s[14:15]
	v_mul_u64_e32 v[20:21], s[24:25], v[16:17]
	v_mul_u64_e32 v[10:11], s[14:15], v[16:17]
	s_delay_alu instid0(VALU_DEP_3) | instskip(NEXT) | instid1(VALU_DEP_1)
	v_add_nc_u64_e32 v[18:19], v[22:23], v[18:19]
	v_add_co_u32 v7, vcc_lo, v18, v10
	s_delay_alu instid0(VALU_DEP_2) | instskip(SKIP_1) | instid1(VALU_DEP_1)
	v_add_co_ci_u32_e32 v12, vcc_lo, v19, v11, vcc_lo
	v_add_co_ci_u32_e32 v21, vcc_lo, 0, v21, vcc_lo
	v_add_nc_u64_e32 v[10:11], v[12:13], v[20:21]
	s_delay_alu instid0(VALU_DEP_1) | instskip(NEXT) | instid1(VALU_DEP_1)
	v_mul_u64_e32 v[10:11], s[12:13], v[10:11]
	v_sub_co_u32 v10, vcc_lo, v14, v10
	s_delay_alu instid0(VALU_DEP_1) | instskip(NEXT) | instid1(VALU_DEP_1)
	v_cmp_le_u32_e64 s2, s12, v10
	v_cndmask_b32_e64 v14, 0, -1, s2
	s_delay_alu instid0(VALU_DEP_4) | instskip(SKIP_1) | instid1(VALU_DEP_2)
	v_sub_nc_u32_e32 v7, v16, v11
	v_sub_co_ci_u32_e64 v11, null, v16, v11, vcc_lo
	v_subrev_co_ci_u32_e64 v7, null, s13, v7, vcc_lo
	v_sub_co_u32 v12, vcc_lo, v10, s12
	s_delay_alu instid0(VALU_DEP_1) | instskip(NEXT) | instid1(VALU_DEP_2)
	v_subrev_co_ci_u32_e64 v13, null, 0, v7, vcc_lo
	v_cmp_le_u32_e64 s2, s12, v12
	v_subrev_co_ci_u32_e64 v7, null, s13, v7, vcc_lo
	v_cmp_le_u32_e32 vcc_lo, s13, v11
	s_delay_alu instid0(VALU_DEP_3) | instskip(SKIP_3) | instid1(VALU_DEP_3)
	v_cndmask_b32_e64 v15, 0, -1, s2
	v_cmp_le_u32_e64 s2, s13, v13
	v_cndmask_b32_e64 v17, 0, -1, vcc_lo
	v_cmp_eq_u32_e32 vcc_lo, s13, v13
	v_cndmask_b32_e64 v16, 0, -1, s2
	v_cmp_eq_u32_e64 s2, s13, v11
	s_delay_alu instid0(VALU_DEP_2) | instskip(SKIP_1) | instid1(VALU_DEP_1)
	v_cndmask_b32_e32 v15, v16, v15, vcc_lo
	v_sub_co_u32 v16, vcc_lo, v12, s12
	v_subrev_co_ci_u32_e64 v7, null, 0, v7, vcc_lo
	s_delay_alu instid0(VALU_DEP_3) | instskip(SKIP_1) | instid1(VALU_DEP_3)
	v_cmp_ne_u32_e32 vcc_lo, 0, v15
	v_cndmask_b32_e64 v14, v17, v14, s2
	v_dual_cndmask_b32 v7, v13, v7 :: v_dual_cndmask_b32 v12, v12, v16
	s_delay_alu instid0(VALU_DEP_2) | instskip(NEXT) | instid1(VALU_DEP_2)
	v_cmp_ne_u32_e32 vcc_lo, 0, v14
	v_dual_cndmask_b32 v10, v10, v12 :: v_dual_cndmask_b32 v7, v11, v7
	s_delay_alu instid0(VALU_DEP_1) | instskip(NEXT) | instid1(VALU_DEP_2)
	v_xor_b32_e32 v10, v10, v8
	v_xor_b32_e32 v11, v7, v8
	s_delay_alu instid0(VALU_DEP_1)
	v_sub_nc_u64_e32 v[8:9], v[10:11], v[8:9]
                                        ; implicit-def: $vgpr10_vgpr11
.LBB0_15:
	s_and_not1_saveexec_b32 s2, s3
	s_cbranch_execz .LBB0_17
; %bb.16:
	v_cvt_f32_u32_e32 v7, s8
	s_sub_co_i32 s3, 0, s8
	v_mov_b32_e32 v9, 0
	s_delay_alu instid0(VALU_DEP_2) | instskip(SKIP_1) | instid1(TRANS32_DEP_1)
	v_rcp_iflag_f32_e32 v7, v7
	v_nop
	v_mul_f32_e32 v7, 0x4f7ffffe, v7
	s_delay_alu instid0(VALU_DEP_1) | instskip(NEXT) | instid1(VALU_DEP_1)
	v_cvt_u32_f32_e32 v7, v7
	v_mul_lo_u32 v8, s3, v7
	s_delay_alu instid0(VALU_DEP_1) | instskip(NEXT) | instid1(VALU_DEP_1)
	v_mul_hi_u32 v8, v7, v8
	v_add_nc_u32_e32 v7, v7, v8
	s_delay_alu instid0(VALU_DEP_1) | instskip(NEXT) | instid1(VALU_DEP_1)
	v_mul_hi_u32 v7, v10, v7
	v_mul_lo_u32 v7, v7, s8
	s_delay_alu instid0(VALU_DEP_1) | instskip(NEXT) | instid1(VALU_DEP_1)
	v_sub_nc_u32_e32 v7, v10, v7
	v_subrev_nc_u32_e32 v8, s8, v7
	v_cmp_le_u32_e32 vcc_lo, s8, v7
	s_delay_alu instid0(VALU_DEP_2) | instskip(NEXT) | instid1(VALU_DEP_1)
	v_cndmask_b32_e32 v7, v7, v8, vcc_lo
	v_subrev_nc_u32_e32 v8, s8, v7
	v_cmp_le_u32_e32 vcc_lo, s8, v7
	s_delay_alu instid0(VALU_DEP_2)
	v_cndmask_b32_e32 v8, v7, v8, vcc_lo
.LBB0_17:
	s_or_b32 exec_lo, exec_lo, s2
	v_dual_mov_b32 v12, 0 :: v_dual_bitop2_b32 v13, s19, v1 bitop3:0x54
                                        ; implicit-def: $vgpr10_vgpr11
	s_mov_b32 s2, exec_lo
	s_delay_alu instid0(VALU_DEP_1)
	v_cmpx_ne_u64_e32 0, v[12:13]
	s_xor_b32 s3, exec_lo, s2
	s_cbranch_execz .LBB0_19
; %bb.18:
	s_ashr_i32 s12, s19, 31
	s_mov_b32 s27, 0
	s_mov_b32 s13, s12
	v_dual_mov_b32 v7, v6 :: v_dual_mov_b32 v15, v12
	s_add_nc_u64 s[14:15], s[18:19], s[12:13]
	v_mov_b32_e32 v13, v12
	s_xor_b64 s[14:15], s[14:15], s[12:13]
	s_delay_alu instid0(VALU_DEP_2) | instskip(SKIP_4) | instid1(SALU_CYCLE_1)
	v_add_nc_u64_e32 v[10:11], v[0:1], v[6:7]
	s_cvt_f32_u32 s2, s14
	s_cvt_f32_u32 s13, s15
	s_sub_nc_u64 s[22:23], 0, s[14:15]
	v_dual_mov_b32 v17, v12 :: v_dual_mov_b32 v23, v12
	s_fmamk_f32 s2, s13, 0x4f800000, s2
	s_delay_alu instid0(VALU_DEP_2) | instskip(SKIP_3) | instid1(TRANS32_DEP_1)
	v_xor_b32_e32 v14, v10, v6
	v_xor_b32_e32 v16, v11, v6
	;; [unrolled: 1-line block ×3, first 2 shown]
	v_s_rcp_f32 s2, s2
	s_mul_f32 s2, s2, 0x5f7ffffc
	s_delay_alu instid0(SALU_CYCLE_3) | instskip(NEXT) | instid1(SALU_CYCLE_3)
	s_mul_f32 s13, s2, 0x2f800000
	s_trunc_f32 s13, s13
	s_delay_alu instid0(SALU_CYCLE_3) | instskip(SKIP_1) | instid1(SALU_CYCLE_2)
	s_fmamk_f32 s2, s13, 0xcf800000, s2
	s_cvt_u32_f32 s21, s13
	s_cvt_u32_f32 s20, s2
	s_delay_alu instid0(SALU_CYCLE_3) | instskip(NEXT) | instid1(SALU_CYCLE_1)
	s_mul_u64 s[24:25], s[22:23], s[20:21]
	s_mul_hi_u32 s29, s20, s25
	s_mul_i32 s28, s20, s25
	s_mul_hi_u32 s26, s20, s24
	s_mul_i32 s13, s21, s24
	s_add_nc_u64 s[28:29], s[26:27], s[28:29]
	s_mul_hi_u32 s2, s21, s24
	s_mul_hi_u32 s30, s21, s25
	s_add_co_u32 s13, s28, s13
	s_add_co_ci_u32 s26, s29, s2
	s_mul_i32 s24, s21, s25
	s_add_co_ci_u32 s25, s30, 0
	s_delay_alu instid0(SALU_CYCLE_1) | instskip(NEXT) | instid1(SALU_CYCLE_1)
	s_add_nc_u64 s[24:25], s[26:27], s[24:25]
	s_add_co_u32 s20, s20, s24
	s_cselect_b32 s2, -1, 0
	s_delay_alu instid0(SALU_CYCLE_1) | instskip(SKIP_1) | instid1(SALU_CYCLE_1)
	s_cmp_lg_u32 s2, 0
	s_add_co_ci_u32 s21, s21, s25
	s_mul_u64 s[22:23], s[22:23], s[20:21]
	s_delay_alu instid0(SALU_CYCLE_1)
	s_mul_hi_u32 s25, s20, s23
	s_mul_i32 s24, s20, s23
	s_mul_hi_u32 s26, s20, s22
	s_mul_i32 s13, s21, s22
	s_add_nc_u64 s[24:25], s[26:27], s[24:25]
	s_mul_hi_u32 s2, s21, s22
	s_mul_hi_u32 s28, s21, s23
	s_add_co_u32 s13, s24, s13
	s_add_co_ci_u32 s26, s25, s2
	s_mul_i32 s22, s21, s23
	s_add_co_ci_u32 s23, s28, 0
	s_delay_alu instid0(SALU_CYCLE_1) | instskip(NEXT) | instid1(SALU_CYCLE_1)
	s_add_nc_u64 s[22:23], s[26:27], s[22:23]
	s_add_co_u32 s2, s20, s22
	s_cselect_b32 s13, -1, 0
	v_nop
	v_mul_hi_u32 v22, v14, s2
	s_cmp_lg_u32 s13, 0
	s_add_co_ci_u32 s26, s21, s23
	s_mov_b64 s[20:21], 0xffffffff
	v_mul_u64_e32 v[18:19], s[26:27], v[14:15]
	s_and_b64 s[20:21], s[2:3], s[20:21]
	v_mul_u64_e32 v[20:21], s[26:27], v[16:17]
	v_mul_u64_e32 v[10:11], s[20:21], v[16:17]
	s_delay_alu instid0(VALU_DEP_3) | instskip(NEXT) | instid1(VALU_DEP_1)
	v_add_nc_u64_e32 v[18:19], v[22:23], v[18:19]
	v_add_co_u32 v7, vcc_lo, v18, v10
	s_delay_alu instid0(VALU_DEP_2) | instskip(SKIP_1) | instid1(VALU_DEP_1)
	v_add_co_ci_u32_e32 v12, vcc_lo, v19, v11, vcc_lo
	v_add_co_ci_u32_e32 v21, vcc_lo, 0, v21, vcc_lo
	v_add_nc_u64_e32 v[10:11], v[12:13], v[20:21]
	s_delay_alu instid0(VALU_DEP_1) | instskip(NEXT) | instid1(VALU_DEP_1)
	v_mul_u64_e32 v[12:13], s[14:15], v[10:11]
	v_sub_nc_u32_e32 v7, v16, v13
	s_delay_alu instid0(VALU_DEP_2) | instskip(NEXT) | instid1(VALU_DEP_1)
	v_sub_co_u32 v12, vcc_lo, v14, v12
	v_sub_co_ci_u32_e64 v16, null, v16, v13, vcc_lo
	s_delay_alu instid0(VALU_DEP_3) | instskip(NEXT) | instid1(VALU_DEP_3)
	v_subrev_co_ci_u32_e64 v7, null, s15, v7, vcc_lo
	v_sub_co_u32 v14, s2, v12, s14
	s_delay_alu instid0(VALU_DEP_1) | instskip(NEXT) | instid1(VALU_DEP_2)
	v_subrev_co_ci_u32_e64 v7, null, 0, v7, s2
	v_cmp_le_u32_e32 vcc_lo, s14, v14
	v_cndmask_b32_e64 v13, 0, -1, vcc_lo
	s_delay_alu instid0(VALU_DEP_3)
	v_cmp_le_u32_e32 vcc_lo, s15, v7
	v_cndmask_b32_e64 v14, 0, -1, vcc_lo
	v_cmp_le_u32_e32 vcc_lo, s14, v12
	v_cndmask_b32_e64 v17, 0, -1, vcc_lo
	;; [unrolled: 2-line block ×3, first 2 shown]
	v_cmp_eq_u32_e32 vcc_lo, s15, v7
	v_cndmask_b32_e32 v7, v14, v13, vcc_lo
	v_cmp_eq_u32_e32 vcc_lo, s15, v16
	v_add_nc_u64_e32 v[12:13], 2, v[10:11]
	v_add_nc_u64_e32 v[14:15], 1, v[10:11]
	v_cndmask_b32_e32 v16, v18, v17, vcc_lo
	v_cmp_ne_u32_e32 vcc_lo, 0, v7
	s_delay_alu instid0(VALU_DEP_2) | instskip(NEXT) | instid1(VALU_DEP_4)
	v_cmp_ne_u32_e64 s2, 0, v16
	v_dual_cndmask_b32 v12, v14, v12 :: v_dual_cndmask_b32 v7, v15, v13
	s_delay_alu instid0(VALU_DEP_1) | instskip(SKIP_1) | instid1(VALU_DEP_2)
	v_dual_cndmask_b32 v10, v10, v12, s2 :: v_dual_cndmask_b32 v11, v11, v7, s2
	v_mov_b32_e32 v7, v6
	v_xor_b32_e32 v10, v10, v6
	s_delay_alu instid0(VALU_DEP_3) | instskip(NEXT) | instid1(VALU_DEP_1)
	v_xor_b32_e32 v11, v11, v6
	v_sub_nc_u64_e32 v[10:11], v[10:11], v[6:7]
.LBB0_19:
	s_and_not1_saveexec_b32 s2, s3
	s_cbranch_execz .LBB0_21
; %bb.20:
	v_cvt_f32_u32_e32 v6, s18
	s_sub_co_i32 s3, 0, s18
	s_delay_alu instid0(VALU_DEP_1) | instskip(SKIP_1) | instid1(TRANS32_DEP_1)
	v_rcp_iflag_f32_e32 v6, v6
	v_nop
	v_mul_f32_e32 v6, 0x4f7ffffe, v6
	s_delay_alu instid0(VALU_DEP_1) | instskip(NEXT) | instid1(VALU_DEP_1)
	v_cvt_u32_f32_e32 v6, v6
	v_mul_lo_u32 v7, s3, v6
	s_delay_alu instid0(VALU_DEP_1) | instskip(NEXT) | instid1(VALU_DEP_1)
	v_mul_hi_u32 v7, v6, v7
	v_add_nc_u32_e32 v6, v6, v7
	s_delay_alu instid0(VALU_DEP_1) | instskip(NEXT) | instid1(VALU_DEP_1)
	v_mul_hi_u32 v6, v0, v6
	v_mul_lo_u32 v7, v6, s18
	s_delay_alu instid0(VALU_DEP_1) | instskip(NEXT) | instid1(VALU_DEP_1)
	v_sub_nc_u32_e32 v7, v0, v7
	v_subrev_nc_u32_e32 v11, s18, v7
	v_cmp_le_u32_e32 vcc_lo, s18, v7
	s_delay_alu instid0(VALU_DEP_2) | instskip(NEXT) | instid1(VALU_DEP_1)
	v_dual_cndmask_b32 v7, v7, v11 :: v_dual_add_nc_u32 v10, 1, v6
	v_dual_cndmask_b32 v6, v6, v10 :: v_dual_mov_b32 v11, 0
	s_delay_alu instid0(VALU_DEP_2) | instskip(NEXT) | instid1(VALU_DEP_2)
	v_cmp_le_u32_e32 vcc_lo, s18, v7
	v_add_nc_u32_e32 v10, 1, v6
	s_delay_alu instid0(VALU_DEP_1)
	v_cndmask_b32_e32 v10, v6, v10, vcc_lo
.LBB0_21:
	s_or_b32 exec_lo, exec_lo, s2
	s_delay_alu instid0(VALU_DEP_1) | instskip(SKIP_1) | instid1(VALU_DEP_1)
	v_dual_mov_b32 v12, 0 :: v_dual_bitop2_b32 v13, s11, v11 bitop3:0x54
                                        ; implicit-def: $vgpr6_vgpr7
	s_mov_b32 s2, exec_lo
	v_cmpx_ne_u64_e32 0, v[12:13]
	s_xor_b32 s3, exec_lo, s2
	s_cbranch_execz .LBB0_23
; %bb.22:
	s_ashr_i32 s12, s11, 31
	s_mov_b32 s25, 0
	s_mov_b32 s13, s12
	v_dual_mov_b32 v15, v12 :: v_dual_ashrrev_i32 v6, 31, v11
	s_add_nc_u64 s[14:15], s[10:11], s[12:13]
	v_mov_b32_e32 v17, v12
	s_xor_b64 s[12:13], s[14:15], s[12:13]
	s_delay_alu instid0(VALU_DEP_2)
	v_mov_b32_e32 v7, v6
	s_cvt_f32_u32 s2, s12
	s_cvt_f32_u32 s14, s13
	s_sub_nc_u64 s[20:21], 0, s[12:13]
	v_mov_b32_e32 v23, v12
	v_add_nc_u64_e32 v[10:11], v[10:11], v[6:7]
	s_fmamk_f32 s2, s14, 0x4f800000, s2
	v_mov_b32_e32 v13, v12
	s_delay_alu instid0(SALU_CYCLE_2) | instskip(NEXT) | instid1(VALU_DEP_2)
	v_s_rcp_f32 s2, s2
	v_xor_b32_e32 v14, v10, v6
	s_delay_alu instid0(VALU_DEP_3) | instskip(NEXT) | instid1(TRANS32_DEP_1)
	v_xor_b32_e32 v16, v11, v6
	s_mul_f32 s2, s2, 0x5f7ffffc
	s_delay_alu instid0(SALU_CYCLE_3) | instskip(NEXT) | instid1(SALU_CYCLE_3)
	s_mul_f32 s14, s2, 0x2f800000
	s_trunc_f32 s14, s14
	s_delay_alu instid0(SALU_CYCLE_3) | instskip(SKIP_1) | instid1(SALU_CYCLE_2)
	s_fmamk_f32 s2, s14, 0xcf800000, s2
	s_cvt_u32_f32 s15, s14
	s_cvt_u32_f32 s14, s2
	s_delay_alu instid0(SALU_CYCLE_3) | instskip(NEXT) | instid1(SALU_CYCLE_1)
	s_mul_u64 s[22:23], s[20:21], s[14:15]
	s_mul_hi_u32 s27, s14, s23
	s_mul_i32 s26, s14, s23
	s_mul_hi_u32 s24, s14, s22
	s_mul_i32 s28, s15, s22
	s_add_nc_u64 s[26:27], s[24:25], s[26:27]
	s_mul_hi_u32 s2, s15, s22
	s_mul_hi_u32 s29, s15, s23
	s_mul_i32 s22, s15, s23
	s_add_co_u32 s23, s26, s28
	s_add_co_ci_u32 s24, s27, s2
	s_add_co_ci_u32 s23, s29, 0
	s_delay_alu instid0(SALU_CYCLE_1) | instskip(NEXT) | instid1(SALU_CYCLE_1)
	s_add_nc_u64 s[22:23], s[24:25], s[22:23]
	s_add_co_u32 s14, s14, s22
	s_cselect_b32 s2, -1, 0
	s_delay_alu instid0(SALU_CYCLE_1) | instskip(SKIP_1) | instid1(SALU_CYCLE_1)
	s_cmp_lg_u32 s2, 0
	s_add_co_ci_u32 s15, s15, s23
	s_mul_u64 s[20:21], s[20:21], s[14:15]
	s_delay_alu instid0(SALU_CYCLE_1)
	s_mul_hi_u32 s23, s14, s21
	s_mul_i32 s22, s14, s21
	s_mul_hi_u32 s24, s14, s20
	s_mul_i32 s26, s15, s20
	s_add_nc_u64 s[22:23], s[24:25], s[22:23]
	s_mul_hi_u32 s2, s15, s20
	s_mul_hi_u32 s27, s15, s21
	s_mul_i32 s20, s15, s21
	s_add_co_u32 s21, s22, s26
	s_add_co_ci_u32 s24, s23, s2
	s_add_co_ci_u32 s21, s27, 0
	s_delay_alu instid0(SALU_CYCLE_1) | instskip(NEXT) | instid1(SALU_CYCLE_1)
	s_add_nc_u64 s[20:21], s[24:25], s[20:21]
	s_add_co_u32 s2, s14, s20
	s_cselect_b32 s14, -1, 0
	v_mul_hi_u32 v22, v14, s2
	s_cmp_lg_u32 s14, 0
	s_add_co_ci_u32 s24, s15, s21
	s_mov_b64 s[14:15], 0xffffffff
	v_mul_u64_e32 v[18:19], s[24:25], v[14:15]
	s_and_b64 s[14:15], s[2:3], s[14:15]
	v_mul_u64_e32 v[20:21], s[24:25], v[16:17]
	v_mul_u64_e32 v[10:11], s[14:15], v[16:17]
	s_delay_alu instid0(VALU_DEP_3) | instskip(NEXT) | instid1(VALU_DEP_1)
	v_add_nc_u64_e32 v[18:19], v[22:23], v[18:19]
	v_add_co_u32 v10, vcc_lo, v18, v10
	s_delay_alu instid0(VALU_DEP_2) | instskip(SKIP_1) | instid1(VALU_DEP_1)
	v_add_co_ci_u32_e32 v12, vcc_lo, v19, v11, vcc_lo
	v_add_co_ci_u32_e32 v21, vcc_lo, 0, v21, vcc_lo
	v_add_nc_u64_e32 v[10:11], v[12:13], v[20:21]
	s_delay_alu instid0(VALU_DEP_1) | instskip(NEXT) | instid1(VALU_DEP_1)
	v_mul_u64_e32 v[10:11], s[12:13], v[10:11]
	v_sub_nc_u32_e32 v12, v16, v11
	s_delay_alu instid0(VALU_DEP_2) | instskip(NEXT) | instid1(VALU_DEP_1)
	v_sub_co_u32 v10, vcc_lo, v14, v10
	v_sub_co_ci_u32_e64 v11, null, v16, v11, vcc_lo
	s_delay_alu instid0(VALU_DEP_3) | instskip(NEXT) | instid1(VALU_DEP_3)
	v_subrev_co_ci_u32_e64 v12, null, s13, v12, vcc_lo
	v_sub_co_u32 v13, vcc_lo, v10, s12
	v_cmp_le_u32_e64 s2, s12, v10
	s_delay_alu instid0(VALU_DEP_3) | instskip(SKIP_1) | instid1(VALU_DEP_3)
	v_subrev_co_ci_u32_e64 v14, null, 0, v12, vcc_lo
	v_subrev_co_ci_u32_e64 v12, null, s13, v12, vcc_lo
	v_cndmask_b32_e64 v15, 0, -1, s2
	v_cmp_le_u32_e64 s2, s12, v13
	v_cmp_le_u32_e32 vcc_lo, s13, v11
	s_delay_alu instid0(VALU_DEP_2) | instskip(SKIP_3) | instid1(VALU_DEP_3)
	v_cndmask_b32_e64 v16, 0, -1, s2
	v_cmp_le_u32_e64 s2, s13, v14
	v_cndmask_b32_e64 v18, 0, -1, vcc_lo
	v_cmp_eq_u32_e32 vcc_lo, s13, v14
	v_cndmask_b32_e64 v17, 0, -1, s2
	v_cmp_eq_u32_e64 s2, s13, v11
	s_delay_alu instid0(VALU_DEP_2) | instskip(SKIP_1) | instid1(VALU_DEP_1)
	v_cndmask_b32_e32 v16, v17, v16, vcc_lo
	v_sub_co_u32 v17, vcc_lo, v13, s12
	v_subrev_co_ci_u32_e64 v12, null, 0, v12, vcc_lo
	s_delay_alu instid0(VALU_DEP_3) | instskip(NEXT) | instid1(VALU_DEP_3)
	v_cmp_ne_u32_e32 vcc_lo, 0, v16
	v_dual_cndmask_b32 v15, v18, v15, s2 :: v_dual_cndmask_b32 v13, v13, v17, vcc_lo
	s_delay_alu instid0(VALU_DEP_3) | instskip(NEXT) | instid1(VALU_DEP_2)
	v_cndmask_b32_e32 v12, v14, v12, vcc_lo
	v_cmp_ne_u32_e32 vcc_lo, 0, v15
	s_delay_alu instid0(VALU_DEP_2) | instskip(NEXT) | instid1(VALU_DEP_1)
	v_dual_cndmask_b32 v11, v11, v12 :: v_dual_cndmask_b32 v10, v10, v13
	v_xor_b32_e32 v11, v11, v6
	s_delay_alu instid0(VALU_DEP_2) | instskip(NEXT) | instid1(VALU_DEP_1)
	v_xor_b32_e32 v10, v10, v6
	v_sub_nc_u64_e32 v[6:7], v[10:11], v[6:7]
                                        ; implicit-def: $vgpr10_vgpr11
.LBB0_23:
	s_and_not1_saveexec_b32 s2, s3
	s_cbranch_execz .LBB0_25
; %bb.24:
	v_cvt_f32_u32_e32 v6, s10
	s_sub_co_i32 s3, 0, s10
	s_delay_alu instid0(VALU_DEP_1) | instskip(SKIP_1) | instid1(TRANS32_DEP_1)
	v_rcp_iflag_f32_e32 v6, v6
	v_nop
	v_mul_f32_e32 v6, 0x4f7ffffe, v6
	s_delay_alu instid0(VALU_DEP_1) | instskip(NEXT) | instid1(VALU_DEP_1)
	v_cvt_u32_f32_e32 v6, v6
	v_mul_lo_u32 v7, s3, v6
	s_delay_alu instid0(VALU_DEP_1) | instskip(NEXT) | instid1(VALU_DEP_1)
	v_mul_hi_u32 v7, v6, v7
	v_add_nc_u32_e32 v6, v6, v7
	s_delay_alu instid0(VALU_DEP_1) | instskip(NEXT) | instid1(VALU_DEP_1)
	v_mul_hi_u32 v6, v10, v6
	v_mul_lo_u32 v6, v6, s10
	s_delay_alu instid0(VALU_DEP_1) | instskip(NEXT) | instid1(VALU_DEP_1)
	v_sub_nc_u32_e32 v6, v10, v6
	v_subrev_nc_u32_e32 v7, s10, v6
	v_cmp_le_u32_e32 vcc_lo, s10, v6
	s_delay_alu instid0(VALU_DEP_2) | instskip(NEXT) | instid1(VALU_DEP_1)
	v_cndmask_b32_e32 v6, v6, v7, vcc_lo
	v_subrev_nc_u32_e32 v7, s10, v6
	v_cmp_le_u32_e32 vcc_lo, s10, v6
	s_delay_alu instid0(VALU_DEP_2)
	v_dual_cndmask_b32 v6, v6, v7 :: v_dual_mov_b32 v7, 0
.LBB0_25:
	s_or_b32 exec_lo, exec_lo, s2
	v_mul_u64_e32 v[2:3], s[4:5], v[2:3]
	s_load_b128 s[12:15], s[0:1], 0x30
	s_wait_kmcnt 0x0
	s_ashr_i32 s3, s12, 31
	s_mov_b32 s2, s12
	s_delay_alu instid0(VALU_DEP_1) | instskip(NEXT) | instid1(VALU_DEP_1)
	v_sub_nc_u64_e32 v[0:1], v[0:1], v[2:3]
                                        ; implicit-def: $vgpr2_vgpr3
	v_sub_nc_u64_e64 v[10:11], v[0:1], s[2:3]
	s_mov_b32 s2, exec_lo
	s_delay_alu instid0(VALU_DEP_1)
	v_cmpx_lt_i64_e32 -1, v[10:11]
	s_xor_b32 s2, exec_lo, s2
; %bb.26:
	v_cmp_le_i64_e32 vcc_lo, s[4:5], v[10:11]
	v_cndmask_b32_e64 v3, 0, s5, vcc_lo
	v_cndmask_b32_e64 v2, 0, s4, vcc_lo
	s_delay_alu instid0(VALU_DEP_1)
	v_sub_nc_u64_e32 v[2:3], v[10:11], v[2:3]
                                        ; implicit-def: $vgpr10_vgpr11
; %bb.27:
	s_and_not1_saveexec_b32 s2, s2
; %bb.28:
	v_add_nc_u64_e32 v[2:3], s[4:5], v[10:11]
; %bb.29:
	s_or_b32 exec_lo, exec_lo, s2
	s_ashr_i32 s3, s13, 31
	s_mov_b32 s2, s13
                                        ; implicit-def: $vgpr10_vgpr11
	s_delay_alu instid0(SALU_CYCLE_1) | instskip(SKIP_1) | instid1(VALU_DEP_1)
	v_sub_nc_u64_e64 v[12:13], v[4:5], s[2:3]
	s_mov_b32 s2, exec_lo
	v_cmpx_lt_i64_e32 -1, v[12:13]
	s_xor_b32 s2, exec_lo, s2
; %bb.30:
	v_cmp_le_i64_e32 vcc_lo, s[6:7], v[12:13]
	v_cndmask_b32_e64 v11, 0, s7, vcc_lo
	v_cndmask_b32_e64 v10, 0, s6, vcc_lo
	s_delay_alu instid0(VALU_DEP_1)
	v_sub_nc_u64_e32 v[10:11], v[12:13], v[10:11]
                                        ; implicit-def: $vgpr12_vgpr13
; %bb.31:
	s_and_not1_saveexec_b32 s2, s2
; %bb.32:
	v_add_nc_u64_e32 v[10:11], s[6:7], v[12:13]
; %bb.33:
	s_or_b32 exec_lo, exec_lo, s2
	s_ashr_i32 s3, s14, 31
	s_mov_b32 s2, s14
                                        ; implicit-def: $vgpr12_vgpr13
	s_delay_alu instid0(SALU_CYCLE_1) | instskip(SKIP_1) | instid1(VALU_DEP_1)
	v_sub_nc_u64_e64 v[14:15], v[8:9], s[2:3]
	s_mov_b32 s2, exec_lo
	v_cmpx_lt_i64_e32 -1, v[14:15]
	s_xor_b32 s2, exec_lo, s2
; %bb.34:
	v_cmp_le_i64_e32 vcc_lo, s[8:9], v[14:15]
	v_cndmask_b32_e64 v13, 0, s9, vcc_lo
	v_cndmask_b32_e64 v12, 0, s8, vcc_lo
	s_delay_alu instid0(VALU_DEP_1)
	v_sub_nc_u64_e32 v[12:13], v[14:15], v[12:13]
                                        ; implicit-def: $vgpr14_vgpr15
; %bb.35:
	s_and_not1_saveexec_b32 s2, s2
; %bb.36:
	v_add_nc_u64_e32 v[12:13], s[8:9], v[14:15]
; %bb.37:
	s_or_b32 exec_lo, exec_lo, s2
	s_ashr_i32 s3, s15, 31
	s_mov_b32 s2, s15
                                        ; implicit-def: $vgpr16_vgpr17
	s_delay_alu instid0(SALU_CYCLE_1) | instskip(SKIP_1) | instid1(VALU_DEP_1)
	v_sub_nc_u64_e64 v[14:15], v[6:7], s[2:3]
	s_mov_b32 s2, exec_lo
	v_cmpx_lt_i64_e32 -1, v[14:15]
	s_xor_b32 s2, exec_lo, s2
; %bb.38:
	v_cmp_le_i64_e32 vcc_lo, s[10:11], v[14:15]
	v_cndmask_b32_e64 v17, 0, s11, vcc_lo
	v_cndmask_b32_e64 v16, 0, s10, vcc_lo
	s_delay_alu instid0(VALU_DEP_1)
	v_sub_nc_u64_e32 v[16:17], v[14:15], v[16:17]
                                        ; implicit-def: $vgpr14_vgpr15
; %bb.39:
	s_or_saveexec_b32 s6, s2
	s_load_b128 s[0:3], s[0:1], 0x0
	s_xor_b32 exec_lo, exec_lo, s6
; %bb.40:
	v_add_nc_u64_e32 v[16:17], s[10:11], v[14:15]
; %bb.41:
	s_or_b32 exec_lo, exec_lo, s6
	s_delay_alu instid0(VALU_DEP_1) | instskip(SKIP_4) | instid1(VALU_DEP_4)
	v_mul_u64_e32 v[14:15], s[18:19], v[16:17]
	v_mul_u64_e32 v[12:13], s[16:17], v[12:13]
	;; [unrolled: 1-line block ×4, first 2 shown]
	s_wait_kmcnt 0x0
	v_lshl_add_u64 v[14:15], v[14:15], 2, s[0:1]
	s_delay_alu instid0(VALU_DEP_1) | instskip(NEXT) | instid1(VALU_DEP_1)
	v_lshl_add_u64 v[12:13], v[12:13], 2, v[14:15]
	v_lshl_add_u64 v[10:11], v[10:11], 2, v[12:13]
	s_delay_alu instid0(VALU_DEP_1) | instskip(SKIP_4) | instid1(VALU_DEP_2)
	v_lshl_add_u64 v[2:3], v[2:3], 2, v[10:11]
	global_load_b32 v10, v[2:3], off
	s_wait_xcnt 0x0
	v_mul_u64_e32 v[2:3], s[18:19], v[6:7]
	v_mul_u64_e32 v[6:7], s[16:17], v[8:9]
	v_lshl_add_u64 v[2:3], v[2:3], 2, s[2:3]
	s_delay_alu instid0(VALU_DEP_1) | instskip(NEXT) | instid1(VALU_DEP_1)
	v_lshl_add_u64 v[2:3], v[6:7], 2, v[2:3]
	v_lshl_add_u64 v[2:3], v[4:5], 2, v[2:3]
	s_delay_alu instid0(VALU_DEP_1)
	v_lshl_add_u64 v[0:1], v[0:1], 2, v[2:3]
	s_wait_loadcnt 0x0
	global_store_b32 v[0:1], v10, off
.LBB0_42:
	s_endpgm
	.section	.rodata,"a",@progbits
	.p2align	6, 0x0
	.amdhsa_kernel _ZL13roll_f32_cudaPKfPflllliiii
		.amdhsa_group_segment_fixed_size 0
		.amdhsa_private_segment_fixed_size 0
		.amdhsa_kernarg_size 320
		.amdhsa_user_sgpr_count 2
		.amdhsa_user_sgpr_dispatch_ptr 0
		.amdhsa_user_sgpr_queue_ptr 0
		.amdhsa_user_sgpr_kernarg_segment_ptr 1
		.amdhsa_user_sgpr_dispatch_id 0
		.amdhsa_user_sgpr_kernarg_preload_length 0
		.amdhsa_user_sgpr_kernarg_preload_offset 0
		.amdhsa_user_sgpr_private_segment_size 0
		.amdhsa_wavefront_size32 1
		.amdhsa_uses_dynamic_stack 0
		.amdhsa_enable_private_segment 0
		.amdhsa_system_sgpr_workgroup_id_x 1
		.amdhsa_system_sgpr_workgroup_id_y 0
		.amdhsa_system_sgpr_workgroup_id_z 0
		.amdhsa_system_sgpr_workgroup_info 0
		.amdhsa_system_vgpr_workitem_id 0
		.amdhsa_next_free_vgpr 24
		.amdhsa_next_free_sgpr 31
		.amdhsa_named_barrier_count 0
		.amdhsa_reserve_vcc 1
		.amdhsa_float_round_mode_32 0
		.amdhsa_float_round_mode_16_64 0
		.amdhsa_float_denorm_mode_32 3
		.amdhsa_float_denorm_mode_16_64 3
		.amdhsa_fp16_overflow 0
		.amdhsa_memory_ordered 1
		.amdhsa_forward_progress 1
		.amdhsa_inst_pref_size 41
		.amdhsa_round_robin_scheduling 0
		.amdhsa_exception_fp_ieee_invalid_op 0
		.amdhsa_exception_fp_denorm_src 0
		.amdhsa_exception_fp_ieee_div_zero 0
		.amdhsa_exception_fp_ieee_overflow 0
		.amdhsa_exception_fp_ieee_underflow 0
		.amdhsa_exception_fp_ieee_inexact 0
		.amdhsa_exception_int_div_zero 0
	.end_amdhsa_kernel
	.section	.text._ZL13roll_f32_cudaPKfPflllliiii,"axG",@progbits,_ZL13roll_f32_cudaPKfPflllliiii,comdat
.Lfunc_end0:
	.size	_ZL13roll_f32_cudaPKfPflllliiii, .Lfunc_end0-_ZL13roll_f32_cudaPKfPflllliiii
                                        ; -- End function
	.set _ZL13roll_f32_cudaPKfPflllliiii.num_vgpr, 24
	.set _ZL13roll_f32_cudaPKfPflllliiii.num_agpr, 0
	.set _ZL13roll_f32_cudaPKfPflllliiii.numbered_sgpr, 31
	.set _ZL13roll_f32_cudaPKfPflllliiii.num_named_barrier, 0
	.set _ZL13roll_f32_cudaPKfPflllliiii.private_seg_size, 0
	.set _ZL13roll_f32_cudaPKfPflllliiii.uses_vcc, 1
	.set _ZL13roll_f32_cudaPKfPflllliiii.uses_flat_scratch, 0
	.set _ZL13roll_f32_cudaPKfPflllliiii.has_dyn_sized_stack, 0
	.set _ZL13roll_f32_cudaPKfPflllliiii.has_recursion, 0
	.set _ZL13roll_f32_cudaPKfPflllliiii.has_indirect_call, 0
	.section	.AMDGPU.csdata,"",@progbits
; Kernel info:
; codeLenInByte = 5152
; TotalNumSgprs: 33
; NumVgprs: 24
; ScratchSize: 0
; MemoryBound: 0
; FloatMode: 240
; IeeeMode: 1
; LDSByteSize: 0 bytes/workgroup (compile time only)
; SGPRBlocks: 0
; VGPRBlocks: 1
; NumSGPRsForWavesPerEU: 33
; NumVGPRsForWavesPerEU: 24
; NamedBarCnt: 0
; Occupancy: 16
; WaveLimiterHint : 0
; COMPUTE_PGM_RSRC2:SCRATCH_EN: 0
; COMPUTE_PGM_RSRC2:USER_SGPR: 2
; COMPUTE_PGM_RSRC2:TRAP_HANDLER: 0
; COMPUTE_PGM_RSRC2:TGID_X_EN: 1
; COMPUTE_PGM_RSRC2:TGID_Y_EN: 0
; COMPUTE_PGM_RSRC2:TGID_Z_EN: 0
; COMPUTE_PGM_RSRC2:TIDIG_COMP_CNT: 0
	.section	.AMDGPU.gpr_maximums,"",@progbits
	.set amdgpu.max_num_vgpr, 0
	.set amdgpu.max_num_agpr, 0
	.set amdgpu.max_num_sgpr, 0
	.section	.AMDGPU.csdata,"",@progbits
	.type	__hip_cuid_638e8df059f53ef3,@object ; @__hip_cuid_638e8df059f53ef3
	.section	.bss,"aw",@nobits
	.globl	__hip_cuid_638e8df059f53ef3
__hip_cuid_638e8df059f53ef3:
	.byte	0                               ; 0x0
	.size	__hip_cuid_638e8df059f53ef3, 1

	.ident	"AMD clang version 22.0.0git (https://github.com/RadeonOpenCompute/llvm-project roc-7.2.4 26084 f58b06dce1f9c15707c5f808fd002e18c2accf7e)"
	.section	".note.GNU-stack","",@progbits
	.addrsig
	.addrsig_sym __hip_cuid_638e8df059f53ef3
	.amdgpu_metadata
---
amdhsa.kernels:
  - .args:
      - .actual_access:  read_only
        .address_space:  global
        .offset:         0
        .size:           8
        .value_kind:     global_buffer
      - .actual_access:  write_only
        .address_space:  global
        .offset:         8
        .size:           8
        .value_kind:     global_buffer
      - .offset:         16
        .size:           8
        .value_kind:     by_value
      - .offset:         24
        .size:           8
        .value_kind:     by_value
      - .offset:         32
        .size:           8
        .value_kind:     by_value
      - .offset:         40
        .size:           8
        .value_kind:     by_value
      - .offset:         48
        .size:           4
        .value_kind:     by_value
      - .offset:         52
        .size:           4
        .value_kind:     by_value
      - .offset:         56
        .size:           4
        .value_kind:     by_value
      - .offset:         60
        .size:           4
        .value_kind:     by_value
      - .offset:         64
        .size:           4
        .value_kind:     hidden_block_count_x
      - .offset:         68
        .size:           4
        .value_kind:     hidden_block_count_y
      - .offset:         72
        .size:           4
        .value_kind:     hidden_block_count_z
      - .offset:         76
        .size:           2
        .value_kind:     hidden_group_size_x
      - .offset:         78
        .size:           2
        .value_kind:     hidden_group_size_y
      - .offset:         80
        .size:           2
        .value_kind:     hidden_group_size_z
      - .offset:         82
        .size:           2
        .value_kind:     hidden_remainder_x
      - .offset:         84
        .size:           2
        .value_kind:     hidden_remainder_y
      - .offset:         86
        .size:           2
        .value_kind:     hidden_remainder_z
      - .offset:         104
        .size:           8
        .value_kind:     hidden_global_offset_x
      - .offset:         112
        .size:           8
        .value_kind:     hidden_global_offset_y
      - .offset:         120
        .size:           8
        .value_kind:     hidden_global_offset_z
      - .offset:         128
        .size:           2
        .value_kind:     hidden_grid_dims
    .group_segment_fixed_size: 0
    .kernarg_segment_align: 8
    .kernarg_segment_size: 320
    .language:       OpenCL C
    .language_version:
      - 2
      - 0
    .max_flat_workgroup_size: 1024
    .name:           _ZL13roll_f32_cudaPKfPflllliiii
    .private_segment_fixed_size: 0
    .sgpr_count:     33
    .sgpr_spill_count: 0
    .symbol:         _ZL13roll_f32_cudaPKfPflllliiii.kd
    .uniform_work_group_size: 1
    .uses_dynamic_stack: false
    .vgpr_count:     24
    .vgpr_spill_count: 0
    .wavefront_size: 32
amdhsa.target:   amdgcn-amd-amdhsa--gfx1250
amdhsa.version:
  - 1
  - 2
...

	.end_amdgpu_metadata
